;; amdgpu-corpus repo=zjin-lcf/HeCBench kind=compiled arch=gfx1100 opt=O3
	.text
	.amdgcn_target "amdgcn-amd-amdhsa--gfx1100"
	.amdhsa_code_object_version 6
	.protected	_Z18kernel_512_one_128PKfS0_S0_S0_Pf ; -- Begin function _Z18kernel_512_one_128PKfS0_S0_S0_Pf
	.globl	_Z18kernel_512_one_128PKfS0_S0_S0_Pf
	.p2align	8
	.type	_Z18kernel_512_one_128PKfS0_S0_S0_Pf,@function
_Z18kernel_512_one_128PKfS0_S0_S0_Pf:   ; @_Z18kernel_512_one_128PKfS0_S0_S0_Pf
; %bb.0:
	v_and_b32_e32 v7, 0x3ff, v0
	v_bfe_u32 v8, v0, 10, 10
	s_clause 0x1
	s_load_b256 s[4:11], s[0:1], 0x0
	s_load_b64 s[0:1], s[0:1], 0x20
	s_mov_b32 s3, 0
	v_mov_b32_e32 v15, 0
	v_lshl_add_u32 v0, v8, 7, v7
	v_lshlrev_b32_e32 v7, 2, v7
	s_delay_alu instid0(VALU_DEP_2) | instskip(NEXT) | instid1(VALU_DEP_1)
	v_lshl_add_u32 v1, s15, 11, v0
	v_add_nc_u32_e32 v3, 0x400, v1
	v_ashrrev_i32_e32 v2, 31, v1
	v_add_nc_u32_e32 v5, 0x600, v1
	s_delay_alu instid0(VALU_DEP_3) | instskip(NEXT) | instid1(VALU_DEP_3)
	v_ashrrev_i32_e32 v4, 31, v3
	v_lshlrev_b64 v[1:2], 2, v[1:2]
	s_delay_alu instid0(VALU_DEP_3) | instskip(NEXT) | instid1(VALU_DEP_3)
	v_ashrrev_i32_e32 v6, 31, v5
	v_lshlrev_b64 v[3:4], 2, v[3:4]
	s_delay_alu instid0(VALU_DEP_2) | instskip(SKIP_1) | instid1(VALU_DEP_4)
	v_lshlrev_b64 v[5:6], 2, v[5:6]
	s_waitcnt lgkmcnt(0)
	v_add_co_u32 v1, vcc_lo, s4, v1
	v_add_co_ci_u32_e32 v2, vcc_lo, s5, v2, vcc_lo
	s_delay_alu instid0(VALU_DEP_4)
	v_add_co_u32 v3, vcc_lo, s4, v3
	v_add_co_ci_u32_e32 v4, vcc_lo, s5, v4, vcc_lo
	v_add_co_u32 v5, vcc_lo, s4, v5
	v_add_co_ci_u32_e32 v6, vcc_lo, s5, v6, vcc_lo
	s_clause 0x3
	global_load_b32 v9, v[1:2], off
	global_load_b32 v10, v[1:2], off offset:2048
	global_load_b32 v11, v[3:4], off
	global_load_b32 v12, v[5:6], off
	s_clause 0x1
	global_load_b32 v13, v7, s[8:9]
	global_load_b32 v14, v7, s[10:11]
	v_lshlrev_b32_e32 v6, 2, v0
	v_add_nc_u32_e32 v1, 0, v7
	v_lshl_add_u32 v3, v8, 11, 0
	s_mov_b32 s4, 0
	s_delay_alu instid0(VALU_DEP_3)
	v_add_nc_u32_e32 v2, 0, v6
	v_add3_u32 v4, 0, 0x2000, v6
	v_add_co_u32 v6, s2, s6, v6
	v_add_nc_u32_e32 v5, 0x2000, v1
	v_add_co_ci_u32_e64 v7, null, s7, 0, s2
	s_waitcnt vmcnt(4)
	ds_store_2addr_stride64_b32 v2, v9, v10 offset1:8
	s_waitcnt vmcnt(2)
	ds_store_2addr_stride64_b32 v2, v11, v12 offset0:16 offset1:24
	s_waitcnt vmcnt(0)
	ds_store_2addr_stride64_b32 v1, v13, v14 offset0:168 offset1:170
	ds_store_b32 v2, v15 offset:40960
	s_waitcnt lgkmcnt(0)
	s_barrier
	buffer_gl0_inv
.LBB0_1:                                ; =>This Loop Header: Depth=1
                                        ;     Child Loop BB0_2 Depth 2
	s_lshl_b32 s2, s4, 7
	s_delay_alu instid0(SALU_CYCLE_1) | instskip(SKIP_3) | instid1(VALU_DEP_2)
	s_lshl_b64 s[6:7], s[2:3], 2
	s_mov_b32 s2, 0
	v_add_co_u32 v8, vcc_lo, v6, s6
	v_add_co_ci_u32_e32 v9, vcc_lo, s7, v7, vcc_lo
	v_add_co_u32 v10, vcc_lo, 0x1000, v8
	s_delay_alu instid0(VALU_DEP_2)
	v_add_co_ci_u32_e32 v11, vcc_lo, 0, v9, vcc_lo
	v_add_co_u32 v12, vcc_lo, v8, 0x2000
	v_add_co_ci_u32_e32 v13, vcc_lo, 0, v9, vcc_lo
	v_add_co_u32 v14, vcc_lo, 0x2000, v8
	;; [unrolled: 2-line block ×8, first 2 shown]
	v_add_co_ci_u32_e32 v27, vcc_lo, 0, v9, vcc_lo
	s_clause 0x5
	global_load_b32 v28, v[12:13], off offset:-4096
	global_load_b32 v29, v[12:13], off
	global_load_b32 v30, v[18:19], off offset:-4096
	global_load_b32 v18, v[18:19], off
	;; [unrolled: 2-line block ×3, first 2 shown]
	v_add_co_u32 v12, vcc_lo, 0x7000, v8
	v_add_co_ci_u32_e32 v13, vcc_lo, 0, v9, vcc_lo
	s_clause 0x9
	global_load_b32 v25, v[8:9], off offset:2048
	global_load_b32 v10, v[10:11], off offset:2048
	global_load_b32 v11, v[14:15], off offset:2048
	global_load_b32 v14, v[16:17], off offset:2048
	global_load_b32 v15, v[20:21], off offset:2048
	global_load_b32 v16, v[22:23], off offset:2048
	global_load_b32 v17, v[26:27], off offset:2048
	global_load_b32 v20, v[12:13], off
	global_load_b32 v8, v[8:9], off
	global_load_b32 v9, v[12:13], off offset:2048
	s_waitcnt vmcnt(9)
	ds_store_2addr_stride64_b32 v4, v25, v28 offset0:8 offset1:16
	s_waitcnt vmcnt(8)
	ds_store_2addr_stride64_b32 v4, v10, v29 offset0:24 offset1:32
	;; [unrolled: 2-line block ×7, first 2 shown]
	s_waitcnt vmcnt(1)
	ds_store_b32 v2, v8 offset:8192
	s_waitcnt vmcnt(0)
	ds_store_b32 v4, v9 offset:30720
	s_waitcnt lgkmcnt(0)
	s_barrier
	buffer_gl0_inv
	ds_load_b32 v8, v2 offset:40960
	v_mov_b32_e32 v9, v5
.LBB0_2:                                ;   Parent Loop BB0_1 Depth=1
                                        ; =>  This Inner Loop Header: Depth=2
	v_add_nc_u32_e32 v10, s2, v3
	s_add_i32 s2, s2, 64
	ds_load_b32 v11, v9
	ds_load_b32 v12, v10
	s_cmpk_eq_i32 s2, 0x100
	s_waitcnt lgkmcnt(0)
	v_fmac_f32_e32 v8, v12, v11
	ds_store_b32 v2, v8 offset:40960
	ds_load_b32 v11, v10 offset:4
	ds_load_b32 v12, v9 offset:512
	s_waitcnt lgkmcnt(0)
	v_fmac_f32_e32 v8, v11, v12
	ds_store_b32 v2, v8 offset:40960
	ds_load_b32 v11, v10 offset:8
	ds_load_b32 v12, v9 offset:1024
	;; [unrolled: 5-line block ×15, first 2 shown]
	s_waitcnt lgkmcnt(0)
	v_dual_fmac_f32 v8, v10, v11 :: v_dual_add_nc_u32 v9, 0x2000, v9
	ds_store_b32 v2, v8 offset:40960
	s_cbranch_scc0 .LBB0_2
; %bb.3:                                ;   in Loop: Header=BB0_1 Depth=1
	v_add_nc_u32_e32 v3, 0x100, v3
	s_add_i32 s2, s4, 64
	s_cmpk_gt_u32 s4, 0x1bf
	s_mov_b32 s4, s2
	s_waitcnt lgkmcnt(0)
	s_barrier
	buffer_gl0_inv
	s_cbranch_scc0 .LBB0_1
; %bb.4:
	ds_load_2addr_stride64_b32 v[3:4], v1 offset0:168 offset1:170
	ds_load_b32 v1, v2 offset:40960
	s_lshl_b32 s2, s15, 9
	v_lshlrev_b32_e32 v0, 2, v0
	s_ashr_i32 s3, s2, 31
	s_delay_alu instid0(SALU_CYCLE_1) | instskip(NEXT) | instid1(SALU_CYCLE_1)
	s_lshl_b64 s[2:3], s[2:3], 2
	s_add_u32 s0, s0, s2
	s_addc_u32 s1, s1, s3
	s_waitcnt lgkmcnt(0)
	v_fmac_f32_e32 v3, v4, v1
	s_delay_alu instid0(VALU_DEP_1)
	v_max_f32_e32 v1, 0, v3
	global_store_b32 v0, v1, s[0:1]
	s_nop 0
	s_sendmsg sendmsg(MSG_DEALLOC_VGPRS)
	s_endpgm
	.section	.rodata,"a",@progbits
	.p2align	6, 0x0
	.amdhsa_kernel _Z18kernel_512_one_128PKfS0_S0_S0_Pf
		.amdhsa_group_segment_fixed_size 0
		.amdhsa_private_segment_fixed_size 0
		.amdhsa_kernarg_size 40
		.amdhsa_user_sgpr_count 15
		.amdhsa_user_sgpr_dispatch_ptr 0
		.amdhsa_user_sgpr_queue_ptr 0
		.amdhsa_user_sgpr_kernarg_segment_ptr 1
		.amdhsa_user_sgpr_dispatch_id 0
		.amdhsa_user_sgpr_private_segment_size 0
		.amdhsa_wavefront_size32 1
		.amdhsa_uses_dynamic_stack 0
		.amdhsa_enable_private_segment 0
		.amdhsa_system_sgpr_workgroup_id_x 1
		.amdhsa_system_sgpr_workgroup_id_y 0
		.amdhsa_system_sgpr_workgroup_id_z 0
		.amdhsa_system_sgpr_workgroup_info 0
		.amdhsa_system_vgpr_workitem_id 1
		.amdhsa_next_free_vgpr 31
		.amdhsa_next_free_sgpr 16
		.amdhsa_reserve_vcc 1
		.amdhsa_float_round_mode_32 0
		.amdhsa_float_round_mode_16_64 0
		.amdhsa_float_denorm_mode_32 3
		.amdhsa_float_denorm_mode_16_64 3
		.amdhsa_dx10_clamp 1
		.amdhsa_ieee_mode 1
		.amdhsa_fp16_overflow 0
		.amdhsa_workgroup_processor_mode 1
		.amdhsa_memory_ordered 1
		.amdhsa_forward_progress 0
		.amdhsa_shared_vgpr_count 0
		.amdhsa_exception_fp_ieee_invalid_op 0
		.amdhsa_exception_fp_denorm_src 0
		.amdhsa_exception_fp_ieee_div_zero 0
		.amdhsa_exception_fp_ieee_overflow 0
		.amdhsa_exception_fp_ieee_underflow 0
		.amdhsa_exception_fp_ieee_inexact 0
		.amdhsa_exception_int_div_zero 0
	.end_amdhsa_kernel
	.text
.Lfunc_end0:
	.size	_Z18kernel_512_one_128PKfS0_S0_S0_Pf, .Lfunc_end0-_Z18kernel_512_one_128PKfS0_S0_S0_Pf
                                        ; -- End function
	.section	.AMDGPU.csdata,"",@progbits
; Kernel info:
; codeLenInByte = 1476
; NumSgprs: 18
; NumVgprs: 31
; ScratchSize: 0
; MemoryBound: 1
; FloatMode: 240
; IeeeMode: 1
; LDSByteSize: 0 bytes/workgroup (compile time only)
; SGPRBlocks: 2
; VGPRBlocks: 3
; NumSGPRsForWavesPerEU: 18
; NumVGPRsForWavesPerEU: 31
; Occupancy: 16
; WaveLimiterHint : 1
; COMPUTE_PGM_RSRC2:SCRATCH_EN: 0
; COMPUTE_PGM_RSRC2:USER_SGPR: 15
; COMPUTE_PGM_RSRC2:TRAP_HANDLER: 0
; COMPUTE_PGM_RSRC2:TGID_X_EN: 1
; COMPUTE_PGM_RSRC2:TGID_Y_EN: 0
; COMPUTE_PGM_RSRC2:TGID_Z_EN: 0
; COMPUTE_PGM_RSRC2:TIDIG_COMP_CNT: 1
	.text
	.protected	_Z18kernel_128_one_512PKfS0_S0_S0_Pf ; -- Begin function _Z18kernel_128_one_512PKfS0_S0_S0_Pf
	.globl	_Z18kernel_128_one_512PKfS0_S0_S0_Pf
	.p2align	8
	.type	_Z18kernel_128_one_512PKfS0_S0_S0_Pf,@function
_Z18kernel_128_one_512PKfS0_S0_S0_Pf:   ; @_Z18kernel_128_one_512PKfS0_S0_S0_Pf
; %bb.0:
	v_dual_mov_b32 v41, 0 :: v_dual_and_b32 v2, 0x3ff, v0
	v_bfe_u32 v9, v0, 10, 10
	s_load_b256 s[4:11], s[0:1], 0x0
	s_lshl_b32 s2, s15, 7
	s_load_b64 s[0:1], s[0:1], 0x20
	v_add_nc_u32_e32 v0, s2, v2
	v_lshl_add_u32 v10, v9, 7, v2
	s_mov_b32 s3, 0
	s_delay_alu instid0(VALU_DEP_2) | instskip(NEXT) | instid1(VALU_DEP_2)
	v_ashrrev_i32_e32 v1, 31, v0
	v_lshl_add_u32 v3, s14, 9, v10
	s_delay_alu instid0(VALU_DEP_2) | instskip(NEXT) | instid1(VALU_DEP_2)
	v_lshlrev_b64 v[5:6], 2, v[0:1]
	v_ashrrev_i32_e32 v4, 31, v3
	s_delay_alu instid0(VALU_DEP_1) | instskip(SKIP_1) | instid1(VALU_DEP_3)
	v_lshlrev_b64 v[3:4], 2, v[3:4]
	s_waitcnt lgkmcnt(0)
	v_add_co_u32 v7, vcc_lo, s8, v5
	s_delay_alu instid0(VALU_DEP_4) | instskip(NEXT) | instid1(VALU_DEP_3)
	v_add_co_ci_u32_e32 v8, vcc_lo, s9, v6, vcc_lo
	v_add_co_u32 v3, vcc_lo, s4, v3
	s_delay_alu instid0(VALU_DEP_4)
	v_add_co_ci_u32_e32 v4, vcc_lo, s5, v4, vcc_lo
	v_add_co_u32 v5, vcc_lo, s10, v5
	v_add_co_ci_u32_e32 v6, vcc_lo, s11, v6, vcc_lo
	global_load_b32 v38, v[7:8], off
	global_load_b32 v39, v[3:4], off
	;; [unrolled: 1-line block ×3, first 2 shown]
	v_lshlrev_b32_e32 v3, 9, v9
	v_lshl_add_u32 v4, v10, 2, 0
	v_lshl_add_u32 v5, v2, 2, 0
	s_waitcnt vmcnt(1)
	ds_store_b32 v4, v39
	s_waitcnt vmcnt(0)
	ds_store_2addr_stride64_b32 v5, v38, v40 offset0:144 offset1:146
	ds_store_b32 v4, v41 offset:34816
	v_add_nc_u32_e32 v0, v0, v3
	s_waitcnt lgkmcnt(0)
	s_barrier
	buffer_gl0_inv
	v_add_nc_u32_e32 v6, 0x800, v0
	v_ashrrev_i32_e32 v1, 31, v0
	v_add_nc_u32_e32 v8, 0x1000, v0
	v_add_nc_u32_e32 v10, 0x1800, v0
	;; [unrolled: 1-line block ×3, first 2 shown]
	v_ashrrev_i32_e32 v7, 31, v6
	v_lshlrev_b64 v[36:37], 2, v[0:1]
	v_ashrrev_i32_e32 v9, 31, v8
	v_ashrrev_i32_e32 v11, 31, v10
	v_add_nc_u32_e32 v14, 0x2800, v0
	v_lshlrev_b64 v[6:7], 2, v[6:7]
	v_ashrrev_i32_e32 v13, 31, v12
	v_lshlrev_b64 v[8:9], 2, v[8:9]
	v_add_co_u32 v36, vcc_lo, s6, v36
	v_add_nc_u32_e32 v16, 0x3000, v0
	v_add_co_ci_u32_e32 v37, vcc_lo, s7, v37, vcc_lo
	v_lshlrev_b64 v[10:11], 2, v[10:11]
	v_add_co_u32 v6, vcc_lo, s6, v6
	v_ashrrev_i32_e32 v15, 31, v14
	v_add_nc_u32_e32 v18, 0x3800, v0
	v_add_co_ci_u32_e32 v7, vcc_lo, s7, v7, vcc_lo
	v_lshlrev_b64 v[12:13], 2, v[12:13]
	v_add_co_u32 v8, vcc_lo, s6, v8
	v_ashrrev_i32_e32 v17, 31, v16
	v_add_nc_u32_e32 v20, 0x4000, v0
	v_add_co_ci_u32_e32 v9, vcc_lo, s7, v9, vcc_lo
	v_lshlrev_b64 v[14:15], 2, v[14:15]
	v_add_co_u32 v10, vcc_lo, s6, v10
	v_ashrrev_i32_e32 v19, 31, v18
	v_add_nc_u32_e32 v22, 0x4800, v0
	v_add_co_ci_u32_e32 v11, vcc_lo, s7, v11, vcc_lo
	v_lshlrev_b64 v[16:17], 2, v[16:17]
	v_add_co_u32 v12, vcc_lo, s6, v12
	v_ashrrev_i32_e32 v21, 31, v20
	v_add_nc_u32_e32 v24, 0x5000, v0
	v_add_co_ci_u32_e32 v13, vcc_lo, s7, v13, vcc_lo
	v_lshlrev_b64 v[18:19], 2, v[18:19]
	v_add_co_u32 v14, vcc_lo, s6, v14
	v_ashrrev_i32_e32 v23, 31, v22
	v_add_nc_u32_e32 v26, 0x5800, v0
	v_add_co_ci_u32_e32 v15, vcc_lo, s7, v15, vcc_lo
	v_lshlrev_b64 v[20:21], 2, v[20:21]
	v_add_co_u32 v16, vcc_lo, s6, v16
	v_ashrrev_i32_e32 v25, 31, v24
	v_add_nc_u32_e32 v28, 0x6000, v0
	v_add_co_ci_u32_e32 v17, vcc_lo, s7, v17, vcc_lo
	v_lshlrev_b64 v[22:23], 2, v[22:23]
	v_add_co_u32 v18, vcc_lo, s6, v18
	v_ashrrev_i32_e32 v27, 31, v26
	v_add_nc_u32_e32 v30, 0x6800, v0
	v_add_co_ci_u32_e32 v19, vcc_lo, s7, v19, vcc_lo
	v_lshlrev_b64 v[24:25], 2, v[24:25]
	v_add_co_u32 v20, vcc_lo, s6, v20
	v_ashrrev_i32_e32 v29, 31, v28
	v_add_nc_u32_e32 v32, 0x7000, v0
	v_add_co_ci_u32_e32 v21, vcc_lo, s7, v21, vcc_lo
	v_lshlrev_b64 v[26:27], 2, v[26:27]
	v_add_co_u32 v22, vcc_lo, s6, v22
	v_ashrrev_i32_e32 v31, 31, v30
	v_add_nc_u32_e32 v34, 0x7800, v0
	v_add_co_ci_u32_e32 v23, vcc_lo, s7, v23, vcc_lo
	v_lshlrev_b64 v[28:29], 2, v[28:29]
	v_add_co_u32 v24, vcc_lo, s6, v24
	v_ashrrev_i32_e32 v33, 31, v32
	v_add_co_ci_u32_e32 v25, vcc_lo, s7, v25, vcc_lo
	v_lshlrev_b64 v[30:31], 2, v[30:31]
	v_add_co_u32 v26, vcc_lo, s6, v26
	v_ashrrev_i32_e32 v35, 31, v34
	v_add_co_ci_u32_e32 v27, vcc_lo, s7, v27, vcc_lo
	v_lshlrev_b64 v[32:33], 2, v[32:33]
	v_add_co_u32 v28, vcc_lo, s6, v28
	v_add_co_ci_u32_e32 v29, vcc_lo, s7, v29, vcc_lo
	v_lshlrev_b64 v[34:35], 2, v[34:35]
	v_add_co_u32 v30, vcc_lo, s6, v30
	v_add_co_ci_u32_e32 v31, vcc_lo, s7, v31, vcc_lo
	v_add_co_u32 v32, vcc_lo, s6, v32
	v_add_co_ci_u32_e32 v33, vcc_lo, s7, v33, vcc_lo
	;; [unrolled: 2-line block ×3, first 2 shown]
	s_clause 0xf
	global_load_b32 v36, v[36:37], off
	global_load_b32 v6, v[6:7], off
	;; [unrolled: 1-line block ×16, first 2 shown]
	v_add_nc_u32_e32 v1, 0, v3
	s_waitcnt vmcnt(14)
	ds_store_2addr_stride64_b32 v4, v36, v6 offset0:8 offset1:16
	s_waitcnt vmcnt(12)
	ds_store_2addr_stride64_b32 v4, v7, v8 offset0:24 offset1:32
	;; [unrolled: 2-line block ×8, first 2 shown]
	s_waitcnt lgkmcnt(0)
	s_barrier
	buffer_gl0_inv
	ds_load_b32 v9, v1
	ds_load_2addr_stride64_b32 v[7:8], v5 offset0:8 offset1:10
	ds_load_b32 v6, v4 offset:34816
	ds_load_b32 v10, v5 offset:30720
	v_add_nc_u32_e32 v11, 0x9000, v0
	v_add_nc_u32_e32 v13, 0x9800, v0
	;; [unrolled: 1-line block ×5, first 2 shown]
	v_ashrrev_i32_e32 v12, 31, v11
	v_ashrrev_i32_e32 v14, 31, v13
	v_ashrrev_i32_e32 v16, 31, v15
	v_ashrrev_i32_e32 v18, 31, v17
	v_ashrrev_i32_e32 v20, 31, v19
	v_lshlrev_b64 v[11:12], 2, v[11:12]
	v_lshlrev_b64 v[13:14], 2, v[13:14]
	;; [unrolled: 1-line block ×5, first 2 shown]
	v_add_nc_u32_e32 v21, 0xb800, v0
	v_add_nc_u32_e32 v23, 0xc000, v0
	s_waitcnt lgkmcnt(1)
	v_dual_fmac_f32 v6, v9, v7 :: v_dual_add_nc_u32 v25, 0xc800, v0
	v_add_nc_u32_e32 v27, 0xd000, v0
	v_ashrrev_i32_e32 v22, 31, v21
	v_ashrrev_i32_e32 v24, 31, v23
	s_delay_alu instid0(VALU_DEP_4)
	v_ashrrev_i32_e32 v26, 31, v25
	ds_store_b32 v4, v6 offset:34816
	ds_load_b32 v7, v1 offset:4
	v_lshlrev_b64 v[21:22], 2, v[21:22]
	v_lshlrev_b64 v[23:24], 2, v[23:24]
	;; [unrolled: 1-line block ×3, first 2 shown]
	v_ashrrev_i32_e32 v28, 31, v27
	v_add_nc_u32_e32 v29, 0xd800, v0
	v_add_nc_u32_e32 v31, 0xe000, v0
	;; [unrolled: 1-line block ×4, first 2 shown]
	v_lshlrev_b64 v[27:28], 2, v[27:28]
	v_ashrrev_i32_e32 v30, 31, v29
	v_ashrrev_i32_e32 v32, 31, v31
	;; [unrolled: 1-line block ×4, first 2 shown]
	v_add_nc_u32_e32 v37, 0xf800, v0
	v_lshlrev_b64 v[29:30], 2, v[29:30]
	v_lshlrev_b64 v[31:32], 2, v[31:32]
	;; [unrolled: 1-line block ×4, first 2 shown]
	v_ashrrev_i32_e32 v38, 31, v37
	s_waitcnt lgkmcnt(0)
	v_fmac_f32_e32 v6, v7, v8
	ds_load_2addr_stride64_b32 v[7:8], v5 offset0:12 offset1:14
	v_lshlrev_b64 v[37:38], 2, v[37:38]
	ds_store_b32 v4, v6 offset:34816
	ds_load_b32 v9, v1 offset:8
	s_waitcnt lgkmcnt(0)
	v_fmac_f32_e32 v6, v9, v7
	ds_store_b32 v4, v6 offset:34816
	ds_load_b32 v7, v1 offset:12
	s_waitcnt lgkmcnt(0)
	v_fmac_f32_e32 v6, v7, v8
	ds_load_2addr_stride64_b32 v[7:8], v5 offset0:16 offset1:18
	ds_store_b32 v4, v6 offset:34816
	ds_load_b32 v9, v1 offset:16
	s_waitcnt lgkmcnt(0)
	v_fmac_f32_e32 v6, v9, v7
	ds_store_b32 v4, v6 offset:34816
	ds_load_b32 v7, v1 offset:20
	s_waitcnt lgkmcnt(0)
	v_fmac_f32_e32 v6, v7, v8
	ds_load_2addr_stride64_b32 v[7:8], v5 offset0:20 offset1:22
	;; [unrolled: 9-line block ×26, first 2 shown]
	ds_store_b32 v4, v6 offset:34816
	ds_load_b32 v9, v1 offset:216
	s_waitcnt lgkmcnt(0)
	v_dual_fmac_f32 v6, v9, v7 :: v_dual_add_nc_u32 v9, 0x8800, v0
	ds_store_b32 v4, v6 offset:34816
	ds_load_b32 v7, v1 offset:220
	s_waitcnt lgkmcnt(0)
	v_fmac_f32_e32 v6, v7, v8
	ds_store_b32 v4, v6 offset:34816
	ds_load_b32 v7, v1 offset:224
	s_waitcnt lgkmcnt(0)
	v_fmac_f32_e32 v6, v7, v10
	ds_store_b32 v4, v6 offset:34816
	ds_load_b32 v7, v1 offset:228
	ds_load_b32 v8, v5 offset:31232
	s_waitcnt lgkmcnt(0)
	v_fmac_f32_e32 v6, v7, v8
	ds_store_b32 v4, v6 offset:34816
	ds_load_b32 v7, v1 offset:232
	ds_load_b32 v8, v5 offset:31744
	s_waitcnt lgkmcnt(0)
	v_fmac_f32_e32 v6, v7, v8
	v_add_nc_u32_e32 v7, 0x8000, v0
	ds_store_b32 v4, v6 offset:34816
	ds_load_b32 v8, v1 offset:236
	ds_load_b32 v10, v5 offset:32256
	s_waitcnt lgkmcnt(0)
	v_fmac_f32_e32 v6, v8, v10
	v_ashrrev_i32_e32 v8, 31, v7
	v_ashrrev_i32_e32 v10, 31, v9
	ds_store_b32 v4, v6 offset:34816
	ds_load_b32 v0, v1 offset:240
	ds_load_b32 v39, v5 offset:32768
	v_lshlrev_b64 v[7:8], 2, v[7:8]
	v_lshlrev_b64 v[9:10], 2, v[9:10]
	s_delay_alu instid0(VALU_DEP_2) | instskip(NEXT) | instid1(VALU_DEP_3)
	v_add_co_u32 v7, vcc_lo, s6, v7
	v_add_co_ci_u32_e32 v8, vcc_lo, s7, v8, vcc_lo
	s_delay_alu instid0(VALU_DEP_3) | instskip(NEXT) | instid1(VALU_DEP_4)
	v_add_co_u32 v9, vcc_lo, s6, v9
	v_add_co_ci_u32_e32 v10, vcc_lo, s7, v10, vcc_lo
	v_add_co_u32 v11, vcc_lo, s6, v11
	v_add_co_ci_u32_e32 v12, vcc_lo, s7, v12, vcc_lo
	v_add_co_u32 v13, vcc_lo, s6, v13
	s_waitcnt lgkmcnt(0)
	v_fmac_f32_e32 v6, v0, v39
	v_add_co_ci_u32_e32 v14, vcc_lo, s7, v14, vcc_lo
	v_add_co_u32 v15, vcc_lo, s6, v15
	ds_store_b32 v4, v6 offset:34816
	ds_load_b32 v0, v1 offset:244
	ds_load_b32 v39, v5 offset:33280
	v_add_co_ci_u32_e32 v16, vcc_lo, s7, v16, vcc_lo
	v_add_co_u32 v17, vcc_lo, s6, v17
	v_add_co_ci_u32_e32 v18, vcc_lo, s7, v18, vcc_lo
	v_add_co_u32 v19, vcc_lo, s6, v19
	;; [unrolled: 2-line block ×5, first 2 shown]
	s_waitcnt lgkmcnt(0)
	v_fmac_f32_e32 v6, v0, v39
	v_add_co_ci_u32_e32 v26, vcc_lo, s7, v26, vcc_lo
	v_add_co_u32 v27, vcc_lo, s6, v27
	ds_store_b32 v4, v6 offset:34816
	ds_load_b32 v0, v1 offset:248
	ds_load_b32 v39, v5 offset:33792
	v_add_co_ci_u32_e32 v28, vcc_lo, s7, v28, vcc_lo
	v_add_co_u32 v29, vcc_lo, s6, v29
	v_add_co_ci_u32_e32 v30, vcc_lo, s7, v30, vcc_lo
	v_add_co_u32 v31, vcc_lo, s6, v31
	;; [unrolled: 2-line block ×5, first 2 shown]
	s_waitcnt lgkmcnt(0)
	v_fmac_f32_e32 v6, v0, v39
	v_add_co_ci_u32_e32 v38, vcc_lo, s7, v38, vcc_lo
	ds_store_b32 v4, v6 offset:34816
	ds_load_b32 v0, v1 offset:252
	ds_load_b32 v39, v5 offset:34304
	s_waitcnt lgkmcnt(0)
	v_dual_fmac_f32 v6, v0, v39 :: v_dual_add_nc_u32 v1, 0x100, v1
	ds_store_b32 v4, v6 offset:34816
	s_waitcnt lgkmcnt(0)
	s_barrier
	buffer_gl0_inv
	s_clause 0xf
	global_load_b32 v0, v[7:8], off
	global_load_b32 v6, v[9:10], off
	;; [unrolled: 1-line block ×16, first 2 shown]
	s_waitcnt vmcnt(14)
	ds_store_2addr_stride64_b32 v4, v0, v6 offset0:8 offset1:16
	s_waitcnt vmcnt(12)
	ds_store_2addr_stride64_b32 v4, v7, v8 offset0:24 offset1:32
	;; [unrolled: 2-line block ×8, first 2 shown]
	s_waitcnt lgkmcnt(0)
	s_barrier
	buffer_gl0_inv
	ds_load_b32 v0, v4 offset:34816
	v_add_nc_u32_e32 v6, 0x800, v5
.LBB1_1:                                ; =>This Inner Loop Header: Depth=1
	v_add_nc_u32_e32 v7, s3, v1
	s_add_i32 s3, s3, 64
	ds_load_b32 v8, v6
	ds_load_b32 v9, v7
	s_cmpk_lg_i32 s3, 0x100
	s_waitcnt lgkmcnt(0)
	v_fmac_f32_e32 v0, v9, v8
	ds_store_b32 v4, v0 offset:34816
	ds_load_b32 v8, v7 offset:4
	ds_load_b32 v9, v6 offset:512
	s_waitcnt lgkmcnt(0)
	v_fmac_f32_e32 v0, v8, v9
	ds_store_b32 v4, v0 offset:34816
	ds_load_b32 v8, v7 offset:8
	ds_load_b32 v9, v6 offset:1024
	;; [unrolled: 5-line block ×15, first 2 shown]
	v_add_nc_u32_e32 v6, 0x2000, v6
	s_waitcnt lgkmcnt(0)
	v_fmac_f32_e32 v0, v7, v8
	ds_store_b32 v4, v0 offset:34816
	s_cbranch_scc1 .LBB1_1
; %bb.2:
	s_waitcnt lgkmcnt(0)
	s_barrier
	buffer_gl0_inv
	ds_load_2addr_stride64_b32 v[0:1], v5 offset0:144 offset1:146
	ds_load_b32 v4, v4 offset:34816
	s_lshl_b32 s4, s14, 11
	s_delay_alu instid0(SALU_CYCLE_1) | instskip(NEXT) | instid1(SALU_CYCLE_1)
	s_ashr_i32 s5, s4, 31
	s_lshl_b64 s[4:5], s[4:5], 2
	s_delay_alu instid0(SALU_CYCLE_1) | instskip(SKIP_2) | instid1(SALU_CYCLE_1)
	s_add_u32 s4, s0, s4
	s_addc_u32 s5, s1, s5
	s_ashr_i32 s3, s2, 31
	s_lshl_b64 s[0:1], s[2:3], 2
	s_delay_alu instid0(SALU_CYCLE_1)
	s_add_u32 s0, s4, s0
	s_addc_u32 s1, s5, s1
	s_waitcnt lgkmcnt(0)
	v_fmac_f32_e32 v0, v1, v4
	v_add_lshl_u32 v1, v3, v2, 2
	global_store_b32 v1, v0, s[0:1]
	s_nop 0
	s_sendmsg sendmsg(MSG_DEALLOC_VGPRS)
	s_endpgm
	.section	.rodata,"a",@progbits
	.p2align	6, 0x0
	.amdhsa_kernel _Z18kernel_128_one_512PKfS0_S0_S0_Pf
		.amdhsa_group_segment_fixed_size 0
		.amdhsa_private_segment_fixed_size 0
		.amdhsa_kernarg_size 40
		.amdhsa_user_sgpr_count 14
		.amdhsa_user_sgpr_dispatch_ptr 0
		.amdhsa_user_sgpr_queue_ptr 0
		.amdhsa_user_sgpr_kernarg_segment_ptr 1
		.amdhsa_user_sgpr_dispatch_id 0
		.amdhsa_user_sgpr_private_segment_size 0
		.amdhsa_wavefront_size32 1
		.amdhsa_uses_dynamic_stack 0
		.amdhsa_enable_private_segment 0
		.amdhsa_system_sgpr_workgroup_id_x 1
		.amdhsa_system_sgpr_workgroup_id_y 1
		.amdhsa_system_sgpr_workgroup_id_z 0
		.amdhsa_system_sgpr_workgroup_info 0
		.amdhsa_system_vgpr_workitem_id 1
		.amdhsa_next_free_vgpr 42
		.amdhsa_next_free_sgpr 16
		.amdhsa_reserve_vcc 1
		.amdhsa_float_round_mode_32 0
		.amdhsa_float_round_mode_16_64 0
		.amdhsa_float_denorm_mode_32 3
		.amdhsa_float_denorm_mode_16_64 3
		.amdhsa_dx10_clamp 1
		.amdhsa_ieee_mode 1
		.amdhsa_fp16_overflow 0
		.amdhsa_workgroup_processor_mode 1
		.amdhsa_memory_ordered 1
		.amdhsa_forward_progress 0
		.amdhsa_shared_vgpr_count 0
		.amdhsa_exception_fp_ieee_invalid_op 0
		.amdhsa_exception_fp_denorm_src 0
		.amdhsa_exception_fp_ieee_div_zero 0
		.amdhsa_exception_fp_ieee_overflow 0
		.amdhsa_exception_fp_ieee_underflow 0
		.amdhsa_exception_fp_ieee_inexact 0
		.amdhsa_exception_int_div_zero 0
	.end_amdhsa_kernel
	.text
.Lfunc_end1:
	.size	_Z18kernel_128_one_512PKfS0_S0_S0_Pf, .Lfunc_end1-_Z18kernel_128_one_512PKfS0_S0_S0_Pf
                                        ; -- End function
	.section	.AMDGPU.csdata,"",@progbits
; Kernel info:
; codeLenInByte = 4288
; NumSgprs: 18
; NumVgprs: 42
; ScratchSize: 0
; MemoryBound: 1
; FloatMode: 240
; IeeeMode: 1
; LDSByteSize: 0 bytes/workgroup (compile time only)
; SGPRBlocks: 2
; VGPRBlocks: 5
; NumSGPRsForWavesPerEU: 18
; NumVGPRsForWavesPerEU: 42
; Occupancy: 16
; WaveLimiterHint : 1
; COMPUTE_PGM_RSRC2:SCRATCH_EN: 0
; COMPUTE_PGM_RSRC2:USER_SGPR: 14
; COMPUTE_PGM_RSRC2:TRAP_HANDLER: 0
; COMPUTE_PGM_RSRC2:TGID_X_EN: 1
; COMPUTE_PGM_RSRC2:TGID_Y_EN: 1
; COMPUTE_PGM_RSRC2:TGID_Z_EN: 0
; COMPUTE_PGM_RSRC2:TIDIG_COMP_CNT: 1
	.text
	.p2alignl 7, 3214868480
	.fill 96, 4, 3214868480
	.type	__hip_cuid_83281fc2d9464781,@object ; @__hip_cuid_83281fc2d9464781
	.section	.bss,"aw",@nobits
	.globl	__hip_cuid_83281fc2d9464781
__hip_cuid_83281fc2d9464781:
	.byte	0                               ; 0x0
	.size	__hip_cuid_83281fc2d9464781, 1

	.ident	"AMD clang version 19.0.0git (https://github.com/RadeonOpenCompute/llvm-project roc-6.4.0 25133 c7fe45cf4b819c5991fe208aaa96edf142730f1d)"
	.section	".note.GNU-stack","",@progbits
	.addrsig
	.addrsig_sym __hip_cuid_83281fc2d9464781
	.amdgpu_metadata
---
amdhsa.kernels:
  - .args:
      - .actual_access:  read_only
        .address_space:  global
        .offset:         0
        .size:           8
        .value_kind:     global_buffer
      - .actual_access:  read_only
        .address_space:  global
        .offset:         8
        .size:           8
        .value_kind:     global_buffer
      - .actual_access:  read_only
        .address_space:  global
        .offset:         16
        .size:           8
        .value_kind:     global_buffer
      - .actual_access:  read_only
        .address_space:  global
        .offset:         24
        .size:           8
        .value_kind:     global_buffer
      - .actual_access:  write_only
        .address_space:  global
        .offset:         32
        .size:           8
        .value_kind:     global_buffer
    .group_segment_fixed_size: 0
    .kernarg_segment_align: 8
    .kernarg_segment_size: 40
    .language:       OpenCL C
    .language_version:
      - 2
      - 0
    .max_flat_workgroup_size: 1024
    .name:           _Z18kernel_512_one_128PKfS0_S0_S0_Pf
    .private_segment_fixed_size: 0
    .sgpr_count:     18
    .sgpr_spill_count: 0
    .symbol:         _Z18kernel_512_one_128PKfS0_S0_S0_Pf.kd
    .uniform_work_group_size: 1
    .uses_dynamic_stack: false
    .vgpr_count:     31
    .vgpr_spill_count: 0
    .wavefront_size: 32
    .workgroup_processor_mode: 1
  - .args:
      - .actual_access:  read_only
        .address_space:  global
        .offset:         0
        .size:           8
        .value_kind:     global_buffer
      - .actual_access:  read_only
        .address_space:  global
        .offset:         8
        .size:           8
        .value_kind:     global_buffer
      - .actual_access:  read_only
        .address_space:  global
        .offset:         16
        .size:           8
        .value_kind:     global_buffer
      - .actual_access:  read_only
        .address_space:  global
        .offset:         24
        .size:           8
        .value_kind:     global_buffer
      - .actual_access:  write_only
        .address_space:  global
        .offset:         32
        .size:           8
        .value_kind:     global_buffer
    .group_segment_fixed_size: 0
    .kernarg_segment_align: 8
    .kernarg_segment_size: 40
    .language:       OpenCL C
    .language_version:
      - 2
      - 0
    .max_flat_workgroup_size: 1024
    .name:           _Z18kernel_128_one_512PKfS0_S0_S0_Pf
    .private_segment_fixed_size: 0
    .sgpr_count:     18
    .sgpr_spill_count: 0
    .symbol:         _Z18kernel_128_one_512PKfS0_S0_S0_Pf.kd
    .uniform_work_group_size: 1
    .uses_dynamic_stack: false
    .vgpr_count:     42
    .vgpr_spill_count: 0
    .wavefront_size: 32
    .workgroup_processor_mode: 1
amdhsa.target:   amdgcn-amd-amdhsa--gfx1100
amdhsa.version:
  - 1
  - 2
...

	.end_amdgpu_metadata
